;; amdgpu-corpus repo=ROCm/rocFFT kind=compiled arch=gfx1201 opt=O3
	.text
	.amdgcn_target "amdgcn-amd-amdhsa--gfx1201"
	.amdhsa_code_object_version 6
	.protected	bluestein_single_back_len90_dim1_sp_op_CI_CI ; -- Begin function bluestein_single_back_len90_dim1_sp_op_CI_CI
	.globl	bluestein_single_back_len90_dim1_sp_op_CI_CI
	.p2align	8
	.type	bluestein_single_back_len90_dim1_sp_op_CI_CI,@function
bluestein_single_back_len90_dim1_sp_op_CI_CI: ; @bluestein_single_back_len90_dim1_sp_op_CI_CI
; %bb.0:
	s_load_b128 s[12:15], s[0:1], 0x28
	v_mul_u32_u24_e32 v1, 0x1c72, v0
	s_mov_b32 s2, exec_lo
	s_delay_alu instid0(VALU_DEP_1) | instskip(NEXT) | instid1(VALU_DEP_1)
	v_lshrrev_b32_e32 v1, 16, v1
	v_mad_co_u64_u32 v[56:57], null, ttmp9, 7, v[1:2]
	v_mov_b32_e32 v57, 0
                                        ; kill: def $vgpr2 killed $sgpr0 killed $exec
	s_wait_kmcnt 0x0
	s_delay_alu instid0(VALU_DEP_1)
	v_cmpx_gt_u64_e64 s[12:13], v[56:57]
	s_cbranch_execz .LBB0_23
; %bb.1:
	s_clause 0x1
	s_load_b128 s[4:7], s[0:1], 0x18
	s_load_b64 s[12:13], s[0:1], 0x0
	v_mul_lo_u16 v1, v1, 9
	s_movk_i32 s2, 0xffcd
	s_mov_b32 s3, -1
	s_delay_alu instid0(VALU_DEP_1) | instskip(NEXT) | instid1(VALU_DEP_1)
	v_sub_nc_u16 v28, v0, v1
	v_and_b32_e32 v79, 0xffff, v28
	s_delay_alu instid0(VALU_DEP_1)
	v_or_b32_e32 v80, 48, v79
	s_wait_kmcnt 0x0
	s_load_b128 s[8:11], s[4:5], 0x0
	s_wait_kmcnt 0x0
	v_mad_co_u64_u32 v[0:1], null, s10, v56, 0
	v_mad_co_u64_u32 v[2:3], null, s8, v79, 0
	s_mul_u64 s[4:5], s[8:9], 30
	s_mul_u64 s[2:3], s[8:9], s[2:3]
	s_delay_alu instid0(SALU_CYCLE_1) | instskip(NEXT) | instid1(VALU_DEP_1)
	s_lshl_b64 s[2:3], s[2:3], 3
	v_mad_co_u64_u32 v[4:5], null, s11, v56, v[1:2]
	s_lshl_b64 s[10:11], s[4:5], 3
	s_delay_alu instid0(VALU_DEP_1) | instskip(SKIP_1) | instid1(VALU_DEP_1)
	v_mad_co_u64_u32 v[5:6], null, s9, v79, v[3:4]
	v_mov_b32_e32 v1, v4
	v_lshlrev_b64_e32 v[0:1], 3, v[0:1]
	s_delay_alu instid0(VALU_DEP_3) | instskip(SKIP_1) | instid1(VALU_DEP_2)
	v_mov_b32_e32 v3, v5
	v_mad_co_u64_u32 v[4:5], null, s8, v80, 0
	v_lshlrev_b64_e32 v[2:3], 3, v[2:3]
	s_delay_alu instid0(VALU_DEP_4) | instskip(SKIP_1) | instid1(VALU_DEP_4)
	v_add_co_u32 v14, vcc_lo, s14, v0
	v_add_co_ci_u32_e32 v15, vcc_lo, s15, v1, vcc_lo
	v_mov_b32_e32 v0, v5
	s_delay_alu instid0(VALU_DEP_3) | instskip(SKIP_1) | instid1(VALU_DEP_3)
	v_add_co_u32 v1, vcc_lo, v14, v2
	s_wait_alu 0xfffd
	v_add_co_ci_u32_e32 v2, vcc_lo, v15, v3, vcc_lo
	v_lshlrev_b32_e32 v22, 3, v79
	s_delay_alu instid0(VALU_DEP_3)
	v_mad_co_u64_u32 v[5:6], null, s9, v80, v[0:1]
	s_wait_alu 0xfffe
	v_add_co_u32 v6, vcc_lo, v1, s10
	s_wait_alu 0xfffd
	v_add_co_ci_u32_e32 v7, vcc_lo, s11, v2, vcc_lo
	s_clause 0x1
	global_load_b64 v[73:74], v22, s[12:13]
	global_load_b64 v[57:58], v22, s[12:13] offset:552
	v_add_co_u32 v8, vcc_lo, v6, s10
	s_wait_alu 0xfffd
	v_add_co_ci_u32_e32 v9, vcc_lo, s11, v7, vcc_lo
	v_lshlrev_b64_e32 v[3:4], 3, v[4:5]
	s_delay_alu instid0(VALU_DEP_3) | instskip(SKIP_1) | instid1(VALU_DEP_3)
	v_add_co_u32 v10, vcc_lo, v8, s2
	s_wait_alu 0xfffd
	v_add_co_ci_u32_e32 v11, vcc_lo, s3, v9, vcc_lo
	global_load_b64 v[16:17], v[1:2], off
	v_add_co_u32 v12, vcc_lo, v10, s10
	s_wait_alu 0xfffd
	v_add_co_ci_u32_e32 v13, vcc_lo, s11, v11, vcc_lo
	v_add_co_u32 v3, vcc_lo, v14, v3
	s_wait_alu 0xfffd
	v_add_co_ci_u32_e32 v4, vcc_lo, v15, v4, vcc_lo
	global_load_b64 v[59:60], v22, s[12:13] offset:384
	global_load_b64 v[2:3], v[3:4], off
	global_load_b64 v[67:68], v22, s[12:13] offset:240
	v_add_co_u32 v14, vcc_lo, v12, s10
	s_wait_alu 0xfffd
	v_add_co_ci_u32_e32 v15, vcc_lo, s11, v13, vcc_lo
	global_load_b64 v[4:5], v[6:7], off
	global_load_b64 v[71:72], v22, s[12:13] offset:480
	global_load_b64 v[6:7], v[8:9], off
	global_load_b64 v[69:70], v22, s[12:13] offset:72
	global_load_b64 v[8:9], v[10:11], off
	v_add_co_u32 v18, vcc_lo, v14, s2
	s_wait_alu 0xfffd
	v_add_co_ci_u32_e32 v19, vcc_lo, s3, v15, vcc_lo
	v_cmp_gt_u16_e32 vcc_lo, 3, v28
	s_delay_alu instid0(VALU_DEP_2) | instskip(SKIP_1) | instid1(VALU_DEP_1)
	v_mad_co_u64_u32 v[0:1], null, 0x1e0, s8, v[18:19]
	s_wait_loadcnt 0x6
	v_mad_co_u64_u32 v[10:11], null, 0x1e0, s9, v[1:2]
	s_load_b64 s[8:9], s[0:1], 0x38
	v_mul_f32_e32 v23, v2, v60
	s_wait_loadcnt 0x4
	v_mul_f32_e32 v24, v5, v68
	s_wait_loadcnt 0x2
	s_delay_alu instid0(VALU_DEP_3)
	v_dual_mul_f32 v26, v7, v72 :: v_dual_mov_b32 v1, v10
	global_load_b64 v[65:66], v22, s[12:13] offset:312
	global_load_b64 v[11:12], v[12:13], off
	global_load_b64 v[13:14], v[14:15], off
	global_load_b64 v[63:64], v22, s[12:13] offset:144
	global_load_b64 v[18:19], v[18:19], off
	global_load_b64 v[61:62], v22, s[12:13] offset:624
	global_load_b64 v[20:21], v[0:1], off
	v_mul_hi_u32 v10, 0x24924925, v56
	s_load_b128 s[4:7], s[6:7], 0x0
	v_add_co_u32 v54, s14, s12, v22
	v_fma_f32 v23, v3, v59, -v23
	s_wait_alu 0xf1ff
	v_add_co_ci_u32_e64 v55, null, s13, 0, s14
	v_fmac_f32_e32 v24, v4, v67
	v_sub_nc_u32_e32 v15, v56, v10
	v_fmac_f32_e32 v26, v6, v71
	s_delay_alu instid0(VALU_DEP_2) | instskip(NEXT) | instid1(VALU_DEP_1)
	v_lshrrev_b32_e32 v15, 1, v15
	v_add_nc_u32_e32 v10, v15, v10
	v_mul_f32_e32 v15, v17, v74
	s_delay_alu instid0(VALU_DEP_2) | instskip(NEXT) | instid1(VALU_DEP_1)
	v_lshrrev_b32_e32 v10, 2, v10
	v_mul_lo_u32 v10, v10, 7
	s_delay_alu instid0(VALU_DEP_1) | instskip(NEXT) | instid1(VALU_DEP_1)
	v_sub_nc_u32_e32 v10, v56, v10
	v_mul_u32_u24_e32 v10, 0x5a, v10
	s_delay_alu instid0(VALU_DEP_1) | instskip(SKIP_1) | instid1(VALU_DEP_2)
	v_lshlrev_b32_e32 v82, 3, v10
	v_mul_f32_e32 v10, v16, v74
	v_dual_mul_f32 v22, v3, v60 :: v_dual_add_nc_u32 v81, v22, v82
	s_wait_loadcnt 0x7
	v_mul_f32_e32 v3, v8, v70
	v_fmac_f32_e32 v15, v16, v73
	v_fma_f32 v16, v17, v73, -v10
	v_mul_f32_e32 v10, v4, v68
	v_fmac_f32_e32 v22, v2, v59
	v_dual_mul_f32 v2, v9, v70 :: v_dual_mul_f32 v17, v6, v72
	v_fma_f32 v3, v9, v69, -v3
	s_delay_alu instid0(VALU_DEP_4) | instskip(NEXT) | instid1(VALU_DEP_3)
	v_fma_f32 v25, v5, v67, -v10
	v_fma_f32 v27, v7, v71, -v17
	s_wait_loadcnt 0x2
	v_dual_mul_f32 v4, v12, v66 :: v_dual_mul_f32 v9, v18, v64
	v_fmac_f32_e32 v2, v8, v69
	v_mul_f32_e32 v8, v19, v64
	v_mul_f32_e32 v5, v11, v66
	v_mul_f32_e32 v6, v14, v58
	s_wait_loadcnt 0x0
	v_dual_fmac_f32 v4, v11, v65 :: v_dual_mul_f32 v11, v20, v62
	v_mul_f32_e32 v7, v13, v58
	v_mul_f32_e32 v10, v21, v62
	v_fmac_f32_e32 v8, v18, v63
	v_fma_f32 v9, v19, v63, -v9
	v_fma_f32 v5, v12, v65, -v5
	v_fmac_f32_e32 v6, v13, v57
	v_fma_f32 v7, v14, v57, -v7
	v_fmac_f32_e32 v10, v20, v61
	v_fma_f32 v11, v21, v61, -v11
	ds_store_b64 v81, v[24:25] offset:240
	ds_store_b64 v81, v[26:27] offset:480
	ds_store_2addr_b64 v81, v[15:16], v[2:3] offset1:9
	ds_store_b64 v81, v[8:9] offset:144
	ds_store_2addr_b64 v81, v[4:5], v[22:23] offset0:39 offset1:48
	ds_store_2addr_b64 v81, v[6:7], v[10:11] offset0:69 offset1:78
	s_and_saveexec_b32 s14, vcc_lo
	s_cbranch_execz .LBB0_3
; %bb.2:
	v_add_co_u32 v0, s2, v0, s2
	s_wait_alu 0xf1ff
	v_add_co_ci_u32_e64 v1, s2, s3, v1, s2
	global_load_b64 v[4:5], v[54:55], off offset:216
	global_load_b64 v[2:3], v[0:1], off
	v_add_co_u32 v0, s2, v0, s10
	s_wait_alu 0xf1ff
	v_add_co_ci_u32_e64 v1, s2, s11, v1, s2
	s_delay_alu instid0(VALU_DEP_2) | instskip(SKIP_1) | instid1(VALU_DEP_2)
	v_add_co_u32 v6, s2, v0, s10
	s_wait_alu 0xf1ff
	v_add_co_ci_u32_e64 v7, s2, s11, v1, s2
	global_load_b64 v[0:1], v[0:1], off
	s_clause 0x1
	global_load_b64 v[8:9], v[54:55], off offset:456
	global_load_b64 v[10:11], v[54:55], off offset:696
	global_load_b64 v[6:7], v[6:7], off
	s_wait_loadcnt 0x4
	v_mul_f32_e32 v12, v3, v5
	v_mul_f32_e32 v13, v2, v5
	s_wait_loadcnt 0x0
	v_mul_f32_e32 v5, v7, v11
	v_mul_f32_e32 v11, v6, v11
	v_fmac_f32_e32 v12, v2, v4
	v_mul_f32_e32 v2, v1, v9
	v_mul_f32_e32 v9, v0, v9
	v_fmac_f32_e32 v5, v6, v10
	v_fma_f32 v6, v7, v10, -v11
	s_delay_alu instid0(VALU_DEP_4)
	v_fmac_f32_e32 v2, v0, v8
	v_fma_f32 v13, v3, v4, -v13
	v_fma_f32 v3, v1, v8, -v9
	ds_store_2addr_b64 v81, v[12:13], v[2:3] offset0:27 offset1:57
	ds_store_b64 v81, v[5:6] offset:696
.LBB0_3:
	s_wait_alu 0xfffe
	s_or_b32 exec_lo, exec_lo, s14
	global_wb scope:SCOPE_SE
	s_wait_dscnt 0x0
	s_wait_kmcnt 0x0
	s_barrier_signal -1
	s_barrier_wait -1
	global_inv scope:SCOPE_SE
	ds_load_2addr_b64 v[0:3], v81 offset1:9
	ds_load_2addr_b64 v[4:7], v81 offset0:18 offset1:30
	ds_load_2addr_b64 v[16:19], v81 offset0:60 offset1:69
	ds_load_2addr_b64 v[12:15], v81 offset0:39 offset1:48
	ds_load_b64 v[20:21], v81 offset:624
                                        ; implicit-def: $vgpr8
                                        ; implicit-def: $vgpr22
	s_and_saveexec_b32 s2, vcc_lo
	s_cbranch_execz .LBB0_5
; %bb.4:
	ds_load_2addr_b64 v[8:11], v81 offset0:27 offset1:57
	ds_load_b64 v[22:23], v81 offset:696
.LBB0_5:
	s_wait_alu 0xfffe
	s_or_b32 exec_lo, exec_lo, s2
	v_add_co_u32 v40, s2, v79, 9
	s_wait_alu 0xf1ff
	v_add_co_ci_u32_e64 v24, null, 0, 0, s2
	v_add_co_u32 v42, s2, v79, 18
	s_wait_alu 0xf1ff
	v_add_co_ci_u32_e64 v24, null, 0, 0, s2
	s_wait_dscnt 0x2
	v_dual_add_f32 v24, v6, v16 :: v_dual_add_f32 v25, v0, v6
	v_add_f32_e32 v26, v7, v17
	v_sub_f32_e32 v27, v7, v17
	v_add_f32_e32 v7, v1, v7
	s_delay_alu instid0(VALU_DEP_4)
	v_fma_f32 v0, -0.5, v24, v0
	v_add_f32_e32 v24, v25, v16
	v_sub_f32_e32 v16, v6, v16
	v_fma_f32 v1, -0.5, v26, v1
	v_add_f32_e32 v25, v7, v17
	s_wait_dscnt 0x1
	v_dual_fmamk_f32 v6, v27, 0x3f5db3d7, v0 :: v_dual_add_f32 v17, v12, v18
	s_delay_alu instid0(VALU_DEP_3) | instskip(SKIP_1) | instid1(VALU_DEP_3)
	v_dual_fmac_f32 v0, 0xbf5db3d7, v27 :: v_dual_fmamk_f32 v7, v16, 0xbf5db3d7, v1
	v_dual_add_f32 v26, v2, v12 :: v_dual_add_f32 v27, v13, v19
	v_fma_f32 v2, -0.5, v17, v2
	v_sub_f32_e32 v17, v13, v19
	v_add_f32_e32 v13, v3, v13
	s_delay_alu instid0(VALU_DEP_4) | instskip(SKIP_1) | instid1(VALU_DEP_4)
	v_dual_fmac_f32 v1, 0x3f5db3d7, v16 :: v_dual_add_f32 v16, v26, v18
	v_dual_sub_f32 v18, v12, v18 :: v_dual_fmac_f32 v3, -0.5, v27
	v_fmamk_f32 v12, v17, 0x3f5db3d7, v2
	s_delay_alu instid0(VALU_DEP_4) | instskip(SKIP_4) | instid1(VALU_DEP_3)
	v_dual_fmac_f32 v2, 0xbf5db3d7, v17 :: v_dual_add_f32 v17, v13, v19
	s_wait_dscnt 0x0
	v_dual_add_f32 v26, v4, v14 :: v_dual_add_f32 v19, v14, v20
	v_fmamk_f32 v13, v18, 0xbf5db3d7, v3
	v_fmac_f32_e32 v3, 0x3f5db3d7, v18
	v_dual_add_f32 v27, v15, v21 :: v_dual_add_f32 v18, v26, v20
	v_sub_f32_e32 v20, v14, v20
	v_add_f32_e32 v26, v8, v10
	v_fma_f32 v4, -0.5, v19, v4
	v_sub_f32_e32 v19, v15, v21
	v_add_f32_e32 v15, v5, v15
	s_load_b64 s[0:1], s[0:1], 0x8
	v_add_co_u32 v41, null, v79, 27
	s_delay_alu instid0(VALU_DEP_3) | instskip(NEXT) | instid1(VALU_DEP_3)
	v_fmamk_f32 v14, v19, 0x3f5db3d7, v4
	v_dual_fmac_f32 v4, 0xbf5db3d7, v19 :: v_dual_add_f32 v19, v15, v21
	v_add_f32_e32 v21, v10, v22
	v_dual_sub_f32 v10, v10, v22 :: v_dual_fmac_f32 v5, -0.5, v27
	v_mul_u32_u24_e32 v84, 3, v41
	global_wb scope:SCOPE_SE
	v_dual_fmac_f32 v8, -0.5, v21 :: v_dual_sub_f32 v21, v11, v23
	v_fmamk_f32 v15, v20, 0xbf5db3d7, v5
	v_dual_fmac_f32 v5, 0x3f5db3d7, v20 :: v_dual_add_f32 v20, v26, v22
	v_mul_lo_u16 v26, v79, 3
	s_delay_alu instid0(VALU_DEP_4)
	v_dual_fmamk_f32 v22, v21, 0x3f5db3d7, v8 :: v_dual_add_f32 v27, v11, v23
	v_dual_add_f32 v11, v9, v11 :: v_dual_fmac_f32 v8, 0xbf5db3d7, v21
	s_wait_kmcnt 0x0
	s_barrier_signal -1
	s_barrier_wait -1
	v_fmac_f32_e32 v9, -0.5, v27
	v_add_f32_e32 v21, v11, v23
	v_mul_u32_u24_e32 v11, 3, v40
	global_inv scope:SCOPE_SE
	v_fmamk_f32 v23, v10, 0xbf5db3d7, v9
	v_fmac_f32_e32 v9, 0x3f5db3d7, v10
	v_and_b32_e32 v10, 0xffff, v26
	v_mul_u32_u24_e32 v26, 3, v42
	v_lshl_add_u32 v85, v11, 3, v82
	s_delay_alu instid0(VALU_DEP_3) | instskip(NEXT) | instid1(VALU_DEP_3)
	v_lshl_add_u32 v86, v10, 3, v82
	v_lshl_add_u32 v83, v26, 3, v82
	ds_store_2addr_b64 v86, v[24:25], v[6:7] offset1:1
	ds_store_b64 v86, v[0:1] offset:16
	ds_store_2addr_b64 v85, v[16:17], v[12:13] offset1:1
	ds_store_b64 v85, v[2:3] offset:16
	;; [unrolled: 2-line block ×3, first 2 shown]
	s_and_saveexec_b32 s2, vcc_lo
	s_cbranch_execz .LBB0_7
; %bb.6:
	v_lshl_add_u32 v0, v84, 3, v82
	ds_store_2addr_b64 v0, v[20:21], v[22:23] offset1:1
	ds_store_b64 v0, v[8:9] offset:16
.LBB0_7:
	s_wait_alu 0xfffe
	s_or_b32 exec_lo, exec_lo, s2
	global_wb scope:SCOPE_SE
	s_wait_dscnt 0x0
	s_barrier_signal -1
	s_barrier_wait -1
	global_inv scope:SCOPE_SE
	ds_load_2addr_b64 v[24:27], v81 offset1:9
	ds_load_2addr_b64 v[28:31], v81 offset0:18 offset1:30
	ds_load_2addr_b64 v[32:35], v81 offset0:60 offset1:69
	ds_load_2addr_b64 v[36:39], v81 offset0:39 offset1:48
	ds_load_b64 v[10:11], v81 offset:624
	s_and_saveexec_b32 s2, vcc_lo
	s_cbranch_execz .LBB0_9
; %bb.8:
	ds_load_2addr_b64 v[20:23], v81 offset0:27 offset1:57
	ds_load_b64 v[8:9], v81 offset:696
.LBB0_9:
	s_wait_alu 0xfffe
	s_or_b32 exec_lo, exec_lo, s2
	v_and_b32_e32 v0, 0xff, v79
	v_and_b32_e32 v1, 0xff, v42
	;; [unrolled: 1-line block ×3, first 2 shown]
	s_delay_alu instid0(VALU_DEP_3) | instskip(NEXT) | instid1(VALU_DEP_3)
	v_mul_lo_u16 v0, 0xab, v0
	v_mul_lo_u16 v1, 0xab, v1
	s_delay_alu instid0(VALU_DEP_3) | instskip(NEXT) | instid1(VALU_DEP_3)
	v_mul_lo_u16 v2, 0xab, v2
	v_lshrrev_b16 v43, 9, v0
	s_delay_alu instid0(VALU_DEP_3) | instskip(SKIP_1) | instid1(VALU_DEP_4)
	v_lshrrev_b16 v44, 9, v1
	v_and_b32_e32 v0, 0xff, v41
	v_lshrrev_b16 v45, 9, v2
	s_delay_alu instid0(VALU_DEP_4) | instskip(NEXT) | instid1(VALU_DEP_4)
	v_mul_lo_u16 v1, v43, 3
	v_mul_lo_u16 v2, v44, 3
	s_delay_alu instid0(VALU_DEP_4) | instskip(NEXT) | instid1(VALU_DEP_4)
	v_mul_lo_u16 v0, 0xab, v0
	v_mul_lo_u16 v3, v45, 3
	s_delay_alu instid0(VALU_DEP_4) | instskip(NEXT) | instid1(VALU_DEP_4)
	v_sub_nc_u16 v46, v79, v1
	v_sub_nc_u16 v1, v42, v2
	s_delay_alu instid0(VALU_DEP_4) | instskip(NEXT) | instid1(VALU_DEP_4)
	v_lshrrev_b16 v0, 9, v0
	v_sub_nc_u16 v40, v40, v3
	s_delay_alu instid0(VALU_DEP_4) | instskip(NEXT) | instid1(VALU_DEP_4)
	v_lshlrev_b16 v2, 1, v46
	v_and_b32_e32 v42, 0xff, v1
	s_delay_alu instid0(VALU_DEP_4) | instskip(NEXT) | instid1(VALU_DEP_4)
	v_mul_lo_u16 v0, v0, 3
	v_lshlrev_b16 v1, 1, v40
	v_mad_u16 v43, v43, 9, v46
	v_and_b32_e32 v2, 0xfe, v2
	v_mad_u16 v40, v45, 9, v40
	v_sub_nc_u16 v41, v41, v0
	v_and_b32_e32 v0, 0xfe, v1
	s_delay_alu instid0(VALU_DEP_4) | instskip(NEXT) | instid1(VALU_DEP_3)
	v_lshlrev_b32_e32 v1, 3, v2
	v_lshlrev_b16 v2, 1, v41
	s_delay_alu instid0(VALU_DEP_3)
	v_lshlrev_b32_e32 v0, 3, v0
	s_clause 0x1
	global_load_b128 v[16:19], v1, s[0:1]
	global_load_b128 v[12:15], v0, s[0:1]
	v_and_b32_e32 v1, 0xfe, v2
	v_and_b32_e32 v43, 0xff, v43
	s_wait_loadcnt_dscnt 0x102
	v_dual_mul_f32 v46, v33, v19 :: v_dual_and_b32 v87, 0xff, v41
	v_mul_f32_e32 v45, v30, v17
	v_mul_f32_e32 v47, v32, v19
	s_wait_loadcnt 0x0
	v_mul_f32_e32 v50, v35, v15
	v_mul_f32_e32 v51, v34, v15
	s_wait_dscnt 0x1
	v_dual_mul_f32 v48, v37, v13 :: v_dual_lshlrev_b32 v3, 4, v42
	v_lshl_add_u32 v90, v43, 3, v82
	v_dual_fmac_f32 v47, v33, v18 :: v_dual_and_b32 v40, 0xff, v40
	global_load_b128 v[4:7], v3, s[0:1]
	v_mul_f32_e32 v49, v36, v13
	v_fma_f32 v32, v32, v18, -v46
	v_lshl_add_u32 v89, v40, 3, v82
	v_fma_f32 v34, v34, v14, -v50
	v_fmac_f32_e32 v45, v31, v16
	v_fmac_f32_e32 v49, v37, v12
	;; [unrolled: 1-line block ×3, first 2 shown]
	s_wait_loadcnt_dscnt 0x0
	s_delay_alu instid0(VALU_DEP_2) | instskip(SKIP_3) | instid1(VALU_DEP_4)
	v_dual_add_f32 v52, v27, v49 :: v_dual_mul_f32 v43, v10, v7
	v_lshlrev_b32_e32 v0, 3, v1
	v_mul_f32_e32 v40, v39, v5
	v_mul_f32_e32 v41, v38, v5
	v_fmac_f32_e32 v43, v11, v6
	global_load_b128 v[0:3], v0, s[0:1]
	v_and_b32_e32 v44, 0xffff, v44
	v_fma_f32 v38, v38, v4, -v40
	v_fmac_f32_e32 v41, v39, v4
	global_wb scope:SCOPE_SE
	s_wait_loadcnt 0x0
	s_barrier_signal -1
	v_mul_u32_u24_e32 v44, 9, v44
	s_barrier_wait -1
	global_inv scope:SCOPE_SE
	v_add_nc_u32_e32 v42, v44, v42
	v_mul_f32_e32 v44, v31, v17
	v_fma_f32 v31, v36, v12, -v48
	v_add_f32_e32 v36, v41, v43
	v_sub_f32_e32 v50, v49, v51
	v_lshl_add_u32 v88, v42, 3, v82
	v_mul_f32_e32 v42, v11, v7
	v_fma_f32 v30, v30, v16, -v44
	v_add_f32_e32 v33, v29, v41
	v_sub_f32_e32 v35, v41, v43
	v_sub_f32_e32 v44, v45, v47
	v_fma_f32 v39, v10, v6, -v42
	v_dual_add_f32 v41, v25, v45 :: v_dual_add_f32 v46, v26, v31
	v_dual_add_f32 v48, v31, v34 :: v_dual_add_f32 v49, v49, v51
	s_delay_alu instid0(VALU_DEP_3) | instskip(SKIP_2) | instid1(VALU_DEP_4)
	v_sub_f32_e32 v37, v38, v39
	v_sub_f32_e32 v53, v31, v34
	v_fmac_f32_e32 v29, -0.5, v36
	v_fma_f32 v26, -0.5, v48, v26
	v_mul_f32_e32 v40, v23, v1
	v_dual_mul_f32 v11, v22, v1 :: v_dual_mul_f32 v42, v9, v3
	v_mul_f32_e32 v10, v8, v3
	s_delay_alu instid0(VALU_DEP_3) | instskip(NEXT) | instid1(VALU_DEP_3)
	v_fma_f32 v22, v22, v0, -v40
	v_fmac_f32_e32 v11, v23, v0
	s_delay_alu instid0(VALU_DEP_4) | instskip(NEXT) | instid1(VALU_DEP_4)
	v_fma_f32 v8, v8, v2, -v42
	v_dual_fmac_f32 v10, v9, v2 :: v_dual_add_f32 v23, v38, v39
	v_add_f32_e32 v9, v28, v38
	v_add_f32_e32 v38, v24, v30
	;; [unrolled: 1-line block ×3, first 2 shown]
	v_dual_add_f32 v42, v45, v47 :: v_dual_sub_f32 v45, v30, v32
	s_delay_alu instid0(VALU_DEP_4)
	v_dual_add_f32 v30, v9, v39 :: v_dual_add_f32 v9, v22, v8
	v_fma_f32 v28, -0.5, v23, v28
	v_dual_add_f32 v31, v33, v43 :: v_dual_sub_f32 v76, v22, v8
	v_add_f32_e32 v43, v11, v10
	v_sub_f32_e32 v75, v11, v10
	v_add_f32_e32 v23, v38, v32
	v_fma_f32 v32, -0.5, v40, v24
	v_fmamk_f32 v40, v35, 0x3f5db3d7, v28
	v_add_f32_e32 v24, v41, v47
	v_fma_f32 v33, -0.5, v42, v25
	s_delay_alu instid0(VALU_DEP_4)
	v_dual_fmac_f32 v27, -0.5, v49 :: v_dual_fmamk_f32 v42, v44, 0x3f5db3d7, v32
	v_dual_fmac_f32 v28, 0xbf5db3d7, v35 :: v_dual_fmamk_f32 v41, v37, 0xbf5db3d7, v29
	v_fmac_f32_e32 v32, 0xbf5db3d7, v44
	v_dual_fmac_f32 v29, 0x3f5db3d7, v37 :: v_dual_fmamk_f32 v44, v50, 0x3f5db3d7, v26
	v_fma_f32 v36, -0.5, v9, v20
	v_fma_f32 v37, -0.5, v43, v21
	v_dual_add_f32 v38, v46, v34 :: v_dual_add_f32 v39, v52, v51
	v_dual_fmamk_f32 v43, v45, 0xbf5db3d7, v33 :: v_dual_fmac_f32 v26, 0xbf5db3d7, v50
	s_delay_alu instid0(VALU_DEP_4)
	v_dual_fmac_f32 v33, 0x3f5db3d7, v45 :: v_dual_fmamk_f32 v34, v75, 0x3f5db3d7, v36
	v_dual_fmamk_f32 v45, v53, 0xbf5db3d7, v27 :: v_dual_fmac_f32 v36, 0xbf5db3d7, v75
	v_fmamk_f32 v35, v76, 0xbf5db3d7, v37
	v_fmac_f32_e32 v37, 0x3f5db3d7, v76
	v_fmac_f32_e32 v27, 0x3f5db3d7, v53
	ds_store_2addr_b64 v90, v[23:24], v[42:43] offset1:3
	ds_store_b64 v90, v[32:33] offset:48
	ds_store_2addr_b64 v89, v[38:39], v[44:45] offset1:3
	ds_store_b64 v89, v[26:27] offset:48
	;; [unrolled: 2-line block ×3, first 2 shown]
	s_and_saveexec_b32 s2, vcc_lo
	s_cbranch_execz .LBB0_11
; %bb.10:
	v_add_f32_e32 v9, v21, v11
	v_add_f32_e32 v11, v20, v22
	v_lshl_add_u32 v20, v87, 3, v82
	s_delay_alu instid0(VALU_DEP_2)
	v_dual_add_f32 v8, v11, v8 :: v_dual_add_f32 v9, v9, v10
	ds_store_2addr_b64 v20, v[8:9], v[34:35] offset0:81 offset1:84
	ds_store_b64 v20, v[36:37] offset:696
.LBB0_11:
	s_wait_alu 0xfffe
	s_or_b32 exec_lo, exec_lo, s2
	v_mad_co_u64_u32 v[32:33], null, 0x48, v79, s[0:1]
	global_wb scope:SCOPE_SE
	s_wait_dscnt 0x0
	s_barrier_signal -1
	s_barrier_wait -1
	global_inv scope:SCOPE_SE
	s_add_nc_u64 s[0:1], s[12:13], 0x2d0
	s_clause 0x4
	global_load_b128 v[28:31], v[32:33], off offset:48
	global_load_b128 v[24:27], v[32:33], off offset:64
	;; [unrolled: 1-line block ×4, first 2 shown]
	global_load_b64 v[75:76], v[32:33], off offset:112
	ds_load_2addr_b64 v[39:42], v81 offset1:9
	ds_load_2addr_b64 v[43:46], v81 offset0:18 offset1:27
	ds_load_2addr_b64 v[47:50], v81 offset0:36 offset1:45
	;; [unrolled: 1-line block ×4, first 2 shown]
	s_wait_loadcnt_dscnt 0x404
	v_dual_mul_f32 v33, v41, v29 :: v_dual_lshlrev_b32 v38, 3, v79
	s_wait_dscnt 0x3
	v_dual_mul_f32 v32, v42, v29 :: v_dual_mul_f32 v51, v44, v31
	s_wait_loadcnt 0x3
	v_dual_mul_f32 v52, v43, v31 :: v_dual_mul_f32 v53, v46, v25
	s_wait_dscnt 0x2
	v_dual_mul_f32 v77, v45, v25 :: v_dual_mul_f32 v78, v48, v27
	s_wait_loadcnt 0x2
	v_dual_mul_f32 v99, v47, v27 :: v_dual_mul_f32 v100, v50, v21
	s_wait_dscnt 0x1
	v_dual_mul_f32 v101, v49, v21 :: v_dual_mul_f32 v102, v92, v23
	s_wait_loadcnt_dscnt 0x100
	v_dual_mul_f32 v105, v93, v9 :: v_dual_mul_f32 v106, v96, v11
	s_wait_loadcnt 0x0
	v_dual_mul_f32 v107, v95, v11 :: v_dual_mul_f32 v108, v98, v76
	v_dual_mul_f32 v109, v97, v76 :: v_dual_fmac_f32 v52, v44, v30
	v_fma_f32 v32, v41, v28, -v32
	v_fma_f32 v41, v43, v30, -v51
	;; [unrolled: 1-line block ×3, first 2 shown]
	v_fmac_f32_e32 v33, v42, v28
	v_fma_f32 v42, v45, v24, -v53
	v_dual_mul_f32 v103, v91, v23 :: v_dual_mul_f32 v104, v94, v9
	s_delay_alu instid0(VALU_DEP_4)
	v_dual_fmac_f32 v77, v46, v24 :: v_dual_sub_f32 v78, v41, v43
	v_fma_f32 v45, v91, v22, -v102
	v_fma_f32 v47, v95, v10, -v106
	v_fmac_f32_e32 v99, v48, v26
	v_dual_fmac_f32 v109, v98, v75 :: v_dual_add_f32 v106, v32, v42
	v_fmac_f32_e32 v107, v96, v10
	v_fma_f32 v44, v49, v20, -v100
	v_fmac_f32_e32 v101, v50, v20
	v_fmac_f32_e32 v103, v92, v22
	v_fma_f32 v46, v93, v8, -v104
	v_fma_f32 v48, v97, v75, -v108
	v_dual_add_f32 v92, v41, v47 :: v_dual_add_f32 v49, v39, v41
	v_sub_f32_e32 v98, v52, v99
	v_dual_sub_f32 v110, v77, v109 :: v_dual_sub_f32 v51, v52, v107
	v_dual_sub_f32 v112, v42, v44 :: v_dual_sub_f32 v91, v47, v45
	v_add_f32_e32 v102, v52, v107
	v_add_f32_e32 v95, v40, v52
	v_sub_f32_e32 v52, v99, v52
	v_dual_sub_f32 v100, v107, v103 :: v_dual_fmac_f32 v105, v94, v8
	v_add_f32_e32 v96, v99, v103
	v_add_f32_e32 v50, v43, v45
	v_dual_sub_f32 v53, v99, v103 :: v_dual_add_f32 v108, v44, v46
	v_dual_sub_f32 v93, v43, v41 :: v_dual_add_f32 v114, v42, v48
	v_sub_f32_e32 v94, v45, v47
	v_dual_sub_f32 v104, v103, v107 :: v_dual_sub_f32 v111, v101, v105
	v_dual_sub_f32 v113, v48, v46 :: v_dual_add_f32 v118, v101, v105
	v_add_f32_e32 v117, v33, v77
	v_dual_sub_f32 v119, v44, v46 :: v_dual_add_f32 v122, v77, v109
	v_dual_sub_f32 v41, v41, v47 :: v_dual_sub_f32 v116, v46, v48
	v_sub_f32_e32 v97, v43, v45
	v_dual_sub_f32 v115, v44, v42 :: v_dual_sub_f32 v120, v77, v101
	v_dual_sub_f32 v42, v42, v48 :: v_dual_sub_f32 v121, v109, v105
	v_dual_sub_f32 v77, v101, v77 :: v_dual_add_f32 v44, v106, v44
	v_sub_f32_e32 v123, v105, v109
	v_add_f32_e32 v43, v49, v43
	v_fma_f32 v124, -0.5, v50, v39
	v_add_f32_e32 v50, v95, v99
	v_add_f32_e32 v49, v78, v91
	v_fma_f32 v78, -0.5, v92, v39
	v_add_f32_e32 v39, v93, v94
	v_fma_f32 v93, -0.5, v96, v40
	;; [unrolled: 2-line block ×4, first 2 shown]
	v_fmac_f32_e32 v32, -0.5, v114
	v_add_f32_e32 v96, v117, v101
	v_fma_f32 v98, -0.5, v118, v33
	v_dual_fmac_f32 v33, -0.5, v122 :: v_dual_add_f32 v94, v112, v113
	v_add_f32_e32 v95, v115, v116
	v_dual_add_f32 v99, v120, v121 :: v_dual_fmamk_f32 v102, v41, 0xbf737871, v93
	v_dual_add_f32 v77, v77, v123 :: v_dual_add_f32 v44, v44, v46
	v_dual_add_f32 v43, v43, v45 :: v_dual_fmamk_f32 v46, v110, 0x3f737871, v52
	v_fmamk_f32 v100, v51, 0x3f737871, v124
	v_dual_fmamk_f32 v101, v53, 0xbf737871, v78 :: v_dual_add_f32 v96, v96, v105
	v_dual_fmac_f32 v78, 0x3f737871, v53 :: v_dual_add_f32 v45, v50, v103
	v_fmac_f32_e32 v52, 0xbf737871, v110
	v_fmamk_f32 v103, v97, 0x3f737871, v92
	v_fmac_f32_e32 v92, 0xbf737871, v97
	v_fmamk_f32 v50, v111, 0xbf737871, v32
	v_dual_fmamk_f32 v104, v42, 0xbf737871, v98 :: v_dual_add_f32 v43, v43, v47
	v_dual_fmac_f32 v98, 0x3f737871, v42 :: v_dual_fmamk_f32 v105, v119, 0x3f737871, v33
	v_fmac_f32_e32 v124, 0xbf737871, v51
	v_dual_fmac_f32 v93, 0x3f737871, v41 :: v_dual_fmac_f32 v32, 0x3f737871, v111
	v_fmac_f32_e32 v33, 0xbf737871, v119
	v_dual_fmac_f32 v100, 0x3f167918, v53 :: v_dual_fmac_f32 v101, 0x3f167918, v51
	v_dual_fmac_f32 v78, 0xbf167918, v51 :: v_dual_fmac_f32 v103, 0xbf167918, v41
	v_fmac_f32_e32 v102, 0xbf167918, v97
	s_delay_alu instid0(VALU_DEP_4)
	v_dual_fmac_f32 v92, 0x3f167918, v41 :: v_dual_fmac_f32 v33, 0x3f167918, v42
	v_dual_add_f32 v41, v44, v48 :: v_dual_fmac_f32 v52, 0xbf167918, v111
	v_fmac_f32_e32 v105, 0xbf167918, v42
	v_fmac_f32_e32 v50, 0x3f167918, v110
	v_dual_fmac_f32 v124, 0xbf167918, v53 :: v_dual_add_f32 v45, v45, v107
	v_fmac_f32_e32 v32, 0xbf167918, v110
	v_add_f32_e32 v44, v96, v109
	v_dual_fmac_f32 v100, 0x3e9e377a, v49 :: v_dual_fmac_f32 v101, 0x3e9e377a, v39
	v_dual_fmac_f32 v78, 0x3e9e377a, v39 :: v_dual_fmac_f32 v103, 0x3e9e377a, v40
	;; [unrolled: 1-line block ×3, first 2 shown]
	v_dual_add_f32 v39, v43, v41 :: v_dual_fmac_f32 v50, 0x3e9e377a, v95
	v_dual_fmac_f32 v93, 0x3f167918, v97 :: v_dual_fmac_f32 v46, 0x3f167918, v111
	v_dual_fmac_f32 v92, 0x3e9e377a, v40 :: v_dual_fmac_f32 v33, 0x3e9e377a, v77
	s_delay_alu instid0(VALU_DEP_4) | instskip(SKIP_2) | instid1(VALU_DEP_4)
	v_dual_add_f32 v40, v45, v44 :: v_dual_mul_f32 v53, 0x3f737871, v105
	v_dual_sub_f32 v41, v43, v41 :: v_dual_fmac_f32 v32, 0x3e9e377a, v95
	v_dual_sub_f32 v42, v45, v44 :: v_dual_mul_f32 v95, 0xbf737871, v50
	v_dual_fmac_f32 v52, 0x3e9e377a, v94 :: v_dual_mul_f32 v45, 0x3e9e377a, v33
	v_dual_fmac_f32 v124, 0x3e9e377a, v49 :: v_dual_fmac_f32 v93, 0x3e9e377a, v91
	s_delay_alu instid0(VALU_DEP_3) | instskip(SKIP_4) | instid1(VALU_DEP_4)
	v_fmac_f32_e32 v95, 0x3e9e377a, v105
	v_fmac_f32_e32 v53, 0x3e9e377a, v50
	;; [unrolled: 1-line block ×3, first 2 shown]
	v_dual_fmac_f32 v46, 0x3e9e377a, v94 :: v_dual_mul_f32 v43, 0x3e9e377a, v32
	v_fma_f32 v97, 0xbf737871, v32, -v45
	v_add_f32_e32 v45, v101, v53
	v_sub_f32_e32 v77, v101, v53
	s_delay_alu instid0(VALU_DEP_4) | instskip(SKIP_1) | instid1(VALU_DEP_2)
	v_fma_f32 v33, 0x3f737871, v33, -v43
	v_fmac_f32_e32 v104, 0x3e9e377a, v99
	v_dual_fmac_f32 v98, 0x3f167918, v119 :: v_dual_sub_f32 v91, v78, v33
	s_delay_alu instid0(VALU_DEP_2) | instskip(NEXT) | instid1(VALU_DEP_2)
	v_mul_f32_e32 v51, 0x3f167918, v104
	v_fmac_f32_e32 v98, 0x3e9e377a, v99
	v_mul_f32_e32 v44, 0x3f4f1bbd, v52
	s_delay_alu instid0(VALU_DEP_1) | instskip(NEXT) | instid1(VALU_DEP_1)
	v_fma_f32 v96, 0x3f167918, v98, -v44
	v_add_f32_e32 v49, v124, v96
	v_dual_mul_f32 v47, 0x3f4f1bbd, v98 :: v_dual_sub_f32 v32, v124, v96
	s_delay_alu instid0(VALU_DEP_1)
	v_fma_f32 v98, 0xbf167918, v52, -v47
	v_add_f32_e32 v47, v78, v33
	v_fmac_f32_e32 v51, 0x3f4f1bbd, v46
	v_mul_f32_e32 v94, 0xbf167918, v46
	v_add_f32_e32 v46, v103, v95
	v_dual_add_f32 v48, v92, v97 :: v_dual_sub_f32 v33, v93, v98
	s_delay_alu instid0(VALU_DEP_3) | instskip(SKIP_3) | instid1(VALU_DEP_4)
	v_dual_add_f32 v43, v100, v51 :: v_dual_fmac_f32 v94, 0x3f4f1bbd, v104
	v_dual_add_f32 v50, v93, v98 :: v_dual_sub_f32 v51, v100, v51
	v_sub_f32_e32 v78, v103, v95
	v_sub_f32_e32 v92, v92, v97
	v_add_f32_e32 v44, v102, v94
	v_sub_f32_e32 v52, v102, v94
	ds_store_2addr_b64 v81, v[39:40], v[43:44] offset1:9
	ds_store_2addr_b64 v81, v[45:46], v[47:48] offset0:18 offset1:27
	ds_store_2addr_b64 v81, v[49:50], v[41:42] offset0:36 offset1:45
	ds_store_2addr_b64 v81, v[51:52], v[77:78] offset0:54 offset1:63
	ds_store_2addr_b64 v81, v[91:92], v[32:33] offset0:72 offset1:81
	global_wb scope:SCOPE_SE
	s_wait_dscnt 0x0
	s_barrier_signal -1
	s_barrier_wait -1
	global_inv scope:SCOPE_SE
	s_clause 0x8
	global_load_b64 v[51:52], v[54:55], off offset:720
	global_load_b64 v[77:78], v38, s[0:1] offset:240
	global_load_b64 v[95:96], v38, s[0:1] offset:480
	;; [unrolled: 1-line block ×8, first 2 shown]
	ds_load_2addr_b64 v[39:42], v81 offset1:9
	ds_load_2addr_b64 v[43:46], v81 offset0:18 offset1:30
	ds_load_2addr_b64 v[47:50], v81 offset0:60 offset1:69
	;; [unrolled: 1-line block ×3, first 2 shown]
	ds_load_b64 v[109:110], v81 offset:624
	s_wait_loadcnt_dscnt 0x804
	v_mul_f32_e32 v111, v40, v52
	v_mul_f32_e32 v53, v39, v52
	s_wait_loadcnt_dscnt 0x703
	v_mul_f32_e32 v113, v46, v78
	v_mul_f32_e32 v112, v45, v78
	s_wait_loadcnt_dscnt 0x502
	v_dual_mul_f32 v114, v48, v96 :: v_dual_mul_f32 v115, v42, v98
	s_wait_loadcnt 0x3
	v_dual_mul_f32 v78, v47, v96 :: v_dual_mul_f32 v117, v50, v102
	v_mul_f32_e32 v96, v41, v98
	s_wait_dscnt 0x1
	v_mul_f32_e32 v116, v92, v100
	v_mul_f32_e32 v98, v91, v100
	;; [unrolled: 1-line block ×3, first 2 shown]
	s_wait_loadcnt 0x2
	v_mul_f32_e32 v118, v44, v104
	v_mul_f32_e32 v102, v43, v104
	s_wait_loadcnt 0x0
	v_mul_f32_e32 v119, v94, v108
	v_mul_f32_e32 v104, v93, v108
	s_wait_dscnt 0x0
	v_mul_f32_e32 v120, v110, v106
	v_mul_f32_e32 v108, v109, v106
	v_fma_f32 v52, v39, v51, -v111
	v_fmac_f32_e32 v53, v40, v51
	v_fma_f32 v111, v45, v77, -v113
	v_fmac_f32_e32 v112, v46, v77
	;; [unrolled: 2-line block ×9, first 2 shown]
	ds_store_2addr_b64 v81, v[52:53], v[95:96] offset1:9
	ds_store_2addr_b64 v81, v[77:78], v[99:100] offset0:60 offset1:69
	ds_store_2addr_b64 v81, v[101:102], v[111:112] offset0:18 offset1:30
	;; [unrolled: 1-line block ×3, first 2 shown]
	ds_store_b64 v81, v[107:108] offset:624
	s_and_saveexec_b32 s2, vcc_lo
	s_cbranch_execz .LBB0_13
; %bb.12:
	s_wait_alu 0xfffe
	v_add_co_u32 v38, s0, s0, v38
	s_wait_alu 0xf1ff
	v_add_co_ci_u32_e64 v39, null, s1, 0, s0
	s_clause 0x2
	global_load_b64 v[42:43], v[38:39], off offset:216
	global_load_b64 v[44:45], v[38:39], off offset:456
	;; [unrolled: 1-line block ×3, first 2 shown]
	ds_load_2addr_b64 v[38:41], v81 offset0:27 offset1:57
	ds_load_b64 v[48:49], v81 offset:696
	s_wait_loadcnt_dscnt 0x201
	v_mul_f32_e32 v50, v39, v43
	s_wait_loadcnt 0x1
	v_dual_mul_f32 v51, v38, v43 :: v_dual_mul_f32 v52, v41, v45
	v_mul_f32_e32 v43, v40, v45
	s_wait_loadcnt_dscnt 0x0
	v_mul_f32_e32 v53, v49, v47
	v_mul_f32_e32 v45, v48, v47
	v_fma_f32 v50, v38, v42, -v50
	v_fmac_f32_e32 v51, v39, v42
	v_fma_f32 v42, v40, v44, -v52
	v_fmac_f32_e32 v43, v41, v44
	;; [unrolled: 2-line block ×3, first 2 shown]
	ds_store_2addr_b64 v81, v[50:51], v[42:43] offset0:27 offset1:57
	ds_store_b64 v81, v[44:45] offset:696
.LBB0_13:
	s_wait_alu 0xfffe
	s_or_b32 exec_lo, exec_lo, s2
	global_wb scope:SCOPE_SE
	s_wait_dscnt 0x0
	s_barrier_signal -1
	s_barrier_wait -1
	global_inv scope:SCOPE_SE
	ds_load_2addr_b64 v[42:45], v81 offset1:9
	ds_load_2addr_b64 v[38:41], v81 offset0:18 offset1:30
	ds_load_2addr_b64 v[50:53], v81 offset0:60 offset1:69
	;; [unrolled: 1-line block ×3, first 2 shown]
	ds_load_b64 v[77:78], v81 offset:624
	s_and_saveexec_b32 s0, vcc_lo
	s_cbranch_execz .LBB0_15
; %bb.14:
	ds_load_2addr_b64 v[32:35], v81 offset0:27 offset1:57
	ds_load_b64 v[36:37], v81 offset:696
.LBB0_15:
	s_wait_alu 0xfffe
	s_or_b32 exec_lo, exec_lo, s0
	s_wait_dscnt 0x2
	v_dual_add_f32 v91, v40, v50 :: v_dual_add_f32 v92, v42, v40
	v_sub_f32_e32 v93, v41, v51
	v_dual_add_f32 v94, v41, v51 :: v_dual_add_f32 v41, v43, v41
	s_delay_alu instid0(VALU_DEP_3) | instskip(SKIP_2) | instid1(VALU_DEP_4)
	v_fma_f32 v42, -0.5, v91, v42
	v_sub_f32_e32 v91, v40, v50
	v_add_f32_e32 v40, v92, v50
	v_fma_f32 v43, -0.5, v94, v43
	global_wb scope:SCOPE_SE
	s_wait_dscnt 0x0
	v_fmamk_f32 v50, v93, 0xbf5db3d7, v42
	v_add_f32_e32 v92, v46, v52
	v_dual_fmac_f32 v42, 0x3f5db3d7, v93 :: v_dual_add_f32 v41, v41, v51
	v_fmamk_f32 v51, v91, 0x3f5db3d7, v43
	v_dual_add_f32 v93, v44, v46 :: v_dual_add_f32 v94, v47, v53
	v_fmac_f32_e32 v43, 0xbf5db3d7, v91
	v_fma_f32 v44, -0.5, v92, v44
	v_dual_sub_f32 v92, v47, v53 :: v_dual_add_f32 v47, v45, v47
	s_delay_alu instid0(VALU_DEP_4) | instskip(SKIP_1) | instid1(VALU_DEP_3)
	v_add_f32_e32 v91, v93, v52
	v_dual_fmac_f32 v45, -0.5, v94 :: v_dual_sub_f32 v52, v46, v52
	v_fmamk_f32 v46, v92, 0xbf5db3d7, v44
	v_fmac_f32_e32 v44, 0x3f5db3d7, v92
	v_add_f32_e32 v92, v47, v53
	v_dual_add_f32 v53, v48, v77 :: v_dual_add_f32 v94, v49, v78
	v_add_f32_e32 v93, v38, v48
	v_fmamk_f32 v47, v52, 0x3f5db3d7, v45
	v_fmac_f32_e32 v45, 0xbf5db3d7, v52
	s_delay_alu instid0(VALU_DEP_4) | instskip(SKIP_4) | instid1(VALU_DEP_4)
	v_fma_f32 v38, -0.5, v53, v38
	v_sub_f32_e32 v53, v49, v78
	v_add_f32_e32 v49, v39, v49
	v_dual_add_f32 v52, v93, v77 :: v_dual_fmac_f32 v39, -0.5, v94
	v_add_f32_e32 v93, v32, v34
	v_dual_sub_f32 v77, v48, v77 :: v_dual_fmamk_f32 v48, v53, 0xbf5db3d7, v38
	s_delay_alu instid0(VALU_DEP_4)
	v_dual_fmac_f32 v38, 0x3f5db3d7, v53 :: v_dual_add_f32 v53, v49, v78
	v_add_f32_e32 v78, v34, v36
	s_barrier_signal -1
	s_barrier_wait -1
	global_inv scope:SCOPE_SE
	v_fmac_f32_e32 v32, -0.5, v78
	v_dual_sub_f32 v78, v35, v37 :: v_dual_fmamk_f32 v49, v77, 0x3f5db3d7, v39
	v_fmac_f32_e32 v39, 0xbf5db3d7, v77
	v_add_f32_e32 v77, v35, v37
	v_add_f32_e32 v35, v33, v35
	s_delay_alu instid0(VALU_DEP_2) | instskip(SKIP_4) | instid1(VALU_DEP_4)
	v_fmac_f32_e32 v33, -0.5, v77
	v_sub_f32_e32 v77, v34, v36
	v_add_f32_e32 v34, v93, v36
	v_fmamk_f32 v36, v78, 0xbf5db3d7, v32
	v_dual_fmac_f32 v32, 0x3f5db3d7, v78 :: v_dual_add_f32 v35, v35, v37
	v_fmamk_f32 v37, v77, 0x3f5db3d7, v33
	v_fmac_f32_e32 v33, 0xbf5db3d7, v77
	ds_store_2addr_b64 v86, v[40:41], v[50:51] offset1:1
	ds_store_b64 v86, v[42:43] offset:16
	ds_store_2addr_b64 v85, v[91:92], v[46:47] offset1:1
	ds_store_b64 v85, v[44:45] offset:16
	ds_store_2addr_b64 v83, v[52:53], v[48:49] offset1:1
	ds_store_b64 v83, v[38:39] offset:16
	s_and_saveexec_b32 s0, vcc_lo
	s_cbranch_execz .LBB0_17
; %bb.16:
	v_lshl_add_u32 v38, v84, 3, v82
	ds_store_2addr_b64 v38, v[34:35], v[36:37] offset1:1
	ds_store_b64 v38, v[32:33] offset:16
.LBB0_17:
	s_wait_alu 0xfffe
	s_or_b32 exec_lo, exec_lo, s0
	global_wb scope:SCOPE_SE
	s_wait_dscnt 0x0
	s_barrier_signal -1
	s_barrier_wait -1
	global_inv scope:SCOPE_SE
	ds_load_2addr_b64 v[42:45], v81 offset1:9
	ds_load_2addr_b64 v[38:41], v81 offset0:18 offset1:30
	ds_load_2addr_b64 v[50:53], v81 offset0:60 offset1:69
	;; [unrolled: 1-line block ×3, first 2 shown]
	ds_load_b64 v[77:78], v81 offset:624
	s_and_saveexec_b32 s0, vcc_lo
	s_cbranch_execz .LBB0_19
; %bb.18:
	ds_load_2addr_b64 v[34:37], v81 offset0:27 offset1:57
	ds_load_b64 v[32:33], v81 offset:696
.LBB0_19:
	s_wait_alu 0xfffe
	s_or_b32 exec_lo, exec_lo, s0
	s_wait_dscnt 0x2
	v_dual_mul_f32 v83, v17, v41 :: v_dual_mul_f32 v84, v19, v51
	v_mul_f32_e32 v17, v17, v40
	global_wb scope:SCOPE_SE
	s_wait_dscnt 0x0
	s_barrier_signal -1
	v_dual_fmac_f32 v83, v16, v40 :: v_dual_fmac_f32 v84, v18, v50
	v_fma_f32 v16, v16, v41, -v17
	v_mul_f32_e32 v17, v13, v47
	v_mul_f32_e32 v13, v13, v46
	s_barrier_wait -1
	global_inv scope:SCOPE_SE
	v_fmac_f32_e32 v17, v12, v46
	v_mul_f32_e32 v46, v7, v78
	s_delay_alu instid0(VALU_DEP_1) | instskip(NEXT) | instid1(VALU_DEP_1)
	v_dual_mul_f32 v19, v19, v50 :: v_dual_fmac_f32 v46, v6, v77
	v_fma_f32 v18, v18, v51, -v19
	v_mul_f32_e32 v19, v15, v53
	v_mul_f32_e32 v15, v15, v52
	s_delay_alu instid0(VALU_DEP_2) | instskip(NEXT) | instid1(VALU_DEP_2)
	v_fmac_f32_e32 v19, v14, v52
	v_fma_f32 v15, v14, v53, -v15
	v_add_f32_e32 v14, v43, v16
	v_fma_f32 v40, v12, v47, -v13
	v_mul_f32_e32 v41, v5, v49
	v_mul_f32_e32 v5, v5, v48
	;; [unrolled: 1-line block ×3, first 2 shown]
	s_delay_alu instid0(VALU_DEP_3) | instskip(NEXT) | instid1(VALU_DEP_3)
	v_fmac_f32_e32 v41, v4, v48
	v_fma_f32 v47, v4, v49, -v5
	v_dual_add_f32 v4, v83, v84 :: v_dual_add_f32 v5, v42, v83
	s_delay_alu instid0(VALU_DEP_1) | instskip(SKIP_4) | instid1(VALU_DEP_3)
	v_fma_f32 v4, -0.5, v4, v42
	v_sub_f32_e32 v42, v40, v15
	v_sub_f32_e32 v13, v16, v18
	v_fma_f32 v48, v6, v78, -v7
	v_add_f32_e32 v6, v5, v84
	v_fmamk_f32 v12, v13, 0xbf5db3d7, v4
	v_dual_fmac_f32 v4, 0x3f5db3d7, v13 :: v_dual_add_f32 v7, v16, v18
	v_sub_f32_e32 v16, v83, v84
	s_delay_alu instid0(VALU_DEP_2) | instskip(SKIP_2) | instid1(VALU_DEP_2)
	v_fma_f32 v5, -0.5, v7, v43
	v_dual_add_f32 v7, v14, v18 :: v_dual_add_f32 v14, v17, v19
	v_dual_add_f32 v18, v44, v17 :: v_dual_add_f32 v43, v39, v47
	v_fma_f32 v44, -0.5, v14, v44
	s_delay_alu instid0(VALU_DEP_4) | instskip(SKIP_1) | instid1(VALU_DEP_4)
	v_fmamk_f32 v13, v16, 0x3f5db3d7, v5
	v_dual_fmac_f32 v5, 0xbf5db3d7, v16 :: v_dual_add_f32 v16, v40, v15
	v_add_f32_e32 v14, v18, v19
	v_add_f32_e32 v18, v45, v40
	v_dual_add_f32 v40, v38, v41 :: v_dual_sub_f32 v19, v17, v19
	s_delay_alu instid0(VALU_DEP_4) | instskip(SKIP_1) | instid1(VALU_DEP_4)
	v_dual_fmac_f32 v45, -0.5, v16 :: v_dual_fmamk_f32 v16, v42, 0xbf5db3d7, v44
	v_fmac_f32_e32 v44, 0x3f5db3d7, v42
	v_dual_sub_f32 v42, v47, v48 :: v_dual_add_f32 v15, v18, v15
	v_add_f32_e32 v18, v41, v46
	s_delay_alu instid0(VALU_DEP_1) | instskip(SKIP_2) | instid1(VALU_DEP_3)
	v_fma_f32 v38, -0.5, v18, v38
	v_dual_add_f32 v18, v40, v46 :: v_dual_fmamk_f32 v17, v19, 0x3f5db3d7, v45
	v_fmac_f32_e32 v45, 0xbf5db3d7, v19
	v_dual_add_f32 v19, v47, v48 :: v_dual_fmamk_f32 v40, v42, 0xbf5db3d7, v38
	v_sub_f32_e32 v47, v41, v46
	s_delay_alu instid0(VALU_DEP_2) | instskip(SKIP_1) | instid1(VALU_DEP_2)
	v_dual_fmac_f32 v38, 0x3f5db3d7, v42 :: v_dual_fmac_f32 v39, -0.5, v19
	v_add_f32_e32 v19, v43, v48
	v_fmamk_f32 v41, v47, 0x3f5db3d7, v39
	v_fmac_f32_e32 v39, 0xbf5db3d7, v47
	ds_store_2addr_b64 v90, v[6:7], v[12:13] offset1:3
	ds_store_b64 v90, v[4:5] offset:48
	ds_store_2addr_b64 v89, v[14:15], v[16:17] offset1:3
	ds_store_b64 v89, v[44:45] offset:48
	;; [unrolled: 2-line block ×3, first 2 shown]
	s_and_saveexec_b32 s0, vcc_lo
	s_cbranch_execz .LBB0_21
; %bb.20:
	v_mul_f32_e32 v4, v1, v36
	v_mul_f32_e32 v6, v3, v33
	s_delay_alu instid0(VALU_DEP_1) | instskip(NEXT) | instid1(VALU_DEP_1)
	v_dual_mul_f32 v1, v1, v37 :: v_dual_fmac_f32 v6, v2, v32
	v_fmac_f32_e32 v1, v0, v36
	v_mul_f32_e32 v5, v3, v32
	v_fma_f32 v3, v0, v37, -v4
	s_delay_alu instid0(VALU_DEP_3) | instskip(NEXT) | instid1(VALU_DEP_3)
	v_sub_f32_e32 v7, v1, v6
	v_fma_f32 v4, v2, v33, -v5
	s_delay_alu instid0(VALU_DEP_3) | instskip(NEXT) | instid1(VALU_DEP_2)
	v_dual_add_f32 v2, v1, v6 :: v_dual_add_f32 v5, v35, v3
	v_dual_add_f32 v12, v34, v1 :: v_dual_sub_f32 v13, v3, v4
	v_add_f32_e32 v0, v3, v4
	s_delay_alu instid0(VALU_DEP_3) | instskip(NEXT) | instid1(VALU_DEP_2)
	v_add_f32_e32 v3, v5, v4
	v_fma_f32 v1, -0.5, v0, v35
	v_fma_f32 v0, -0.5, v2, v34
	v_add_f32_e32 v2, v12, v6
	v_lshl_add_u32 v6, v87, 3, v82
	s_delay_alu instid0(VALU_DEP_4) | instskip(NEXT) | instid1(VALU_DEP_4)
	v_fmamk_f32 v5, v7, 0xbf5db3d7, v1
	v_dual_fmac_f32 v1, 0x3f5db3d7, v7 :: v_dual_fmamk_f32 v4, v13, 0x3f5db3d7, v0
	v_fmac_f32_e32 v0, 0xbf5db3d7, v13
	ds_store_2addr_b64 v6, v[2:3], v[0:1] offset0:81 offset1:84
	ds_store_b64 v6, v[4:5] offset:696
.LBB0_21:
	s_wait_alu 0xfffe
	s_or_b32 exec_lo, exec_lo, s0
	global_wb scope:SCOPE_SE
	s_wait_dscnt 0x0
	s_barrier_signal -1
	s_barrier_wait -1
	global_inv scope:SCOPE_SE
	ds_load_2addr_b64 v[0:3], v81 offset1:9
	ds_load_2addr_b64 v[4:7], v81 offset0:18 offset1:27
	ds_load_2addr_b64 v[12:15], v81 offset0:36 offset1:45
	;; [unrolled: 1-line block ×4, first 2 shown]
	s_mov_b32 s2, 0x16c16c17
	s_mov_b32 s3, 0x3f86c16c
	s_wait_dscnt 0x3
	v_dual_mul_f32 v36, v29, v3 :: v_dual_mul_f32 v37, v31, v5
	v_dual_mul_f32 v31, v31, v4 :: v_dual_mul_f32 v38, v25, v7
	v_mul_f32_e32 v25, v25, v6
	s_wait_dscnt 0x2
	v_dual_mul_f32 v39, v27, v13 :: v_dual_mul_f32 v40, v21, v15
	s_delay_alu instid0(VALU_DEP_3) | instskip(NEXT) | instid1(VALU_DEP_2)
	v_dual_fmac_f32 v37, v30, v4 :: v_dual_fmac_f32 v38, v24, v6
	v_dual_mul_f32 v6, v21, v14 :: v_dual_fmac_f32 v39, v26, v12
	s_delay_alu instid0(VALU_DEP_3)
	v_fmac_f32_e32 v40, v20, v14
	s_wait_dscnt 0x0
	v_mul_f32_e32 v14, v11, v32
	v_fma_f32 v4, v24, v7, -v25
	v_mul_f32_e32 v7, v23, v17
	v_mul_f32_e32 v29, v29, v2
	v_dual_mul_f32 v27, v27, v12 :: v_dual_fmac_f32 v36, v28, v2
	v_fma_f32 v2, v30, v5, -v31
	v_mul_f32_e32 v12, v23, v16
	v_fmac_f32_e32 v7, v22, v16
	v_dual_mul_f32 v11, v11, v33 :: v_dual_mul_f32 v16, v76, v35
	v_fma_f32 v5, v26, v13, -v27
	v_mul_f32_e32 v13, v9, v19
	v_fma_f32 v12, v22, v17, -v12
	s_delay_alu instid0(VALU_DEP_4)
	v_dual_mul_f32 v22, v76, v34 :: v_dual_fmac_f32 v11, v10, v32
	v_add_f32_e32 v24, v1, v2
	v_fmac_f32_e32 v16, v75, v34
	v_mul_f32_e32 v9, v9, v18
	v_fma_f32 v6, v20, v15, -v6
	v_dual_sub_f32 v20, v11, v7 :: v_dual_fmac_f32 v13, v8, v18
	v_fma_f32 v14, v10, v33, -v14
	v_dual_sub_f32 v10, v5, v12 :: v_dual_add_f32 v15, v39, v7
	v_fma_f32 v8, v8, v19, -v9
	v_sub_f32_e32 v19, v37, v39
	s_delay_alu instid0(VALU_DEP_4) | instskip(NEXT) | instid1(VALU_DEP_4)
	v_dual_add_f32 v21, v37, v11 :: v_dual_sub_f32 v18, v2, v14
	v_fma_f32 v15, -0.5, v15, v0
	v_fma_f32 v3, v28, v3, -v29
	s_delay_alu instid0(VALU_DEP_4) | instskip(NEXT) | instid1(VALU_DEP_4)
	v_add_f32_e32 v19, v19, v20
	v_fma_f32 v20, -0.5, v21, v0
	v_add_f32_e32 v17, v0, v37
	v_fma_f32 v0, v75, v35, -v22
	s_delay_alu instid0(VALU_DEP_2) | instskip(SKIP_2) | instid1(VALU_DEP_3)
	v_dual_fmamk_f32 v22, v10, 0x3f737871, v20 :: v_dual_add_f32 v9, v17, v39
	v_dual_fmamk_f32 v17, v18, 0xbf737871, v15 :: v_dual_fmac_f32 v20, 0xbf737871, v10
	v_fmac_f32_e32 v15, 0x3f737871, v18
	v_dual_fmac_f32 v22, 0xbf167918, v18 :: v_dual_add_f32 v9, v9, v7
	s_delay_alu instid0(VALU_DEP_3) | instskip(NEXT) | instid1(VALU_DEP_4)
	v_fmac_f32_e32 v17, 0xbf167918, v10
	v_fmac_f32_e32 v20, 0x3f167918, v18
	v_add_f32_e32 v18, v2, v14
	v_fmac_f32_e32 v15, 0x3f167918, v10
	v_add_f32_e32 v21, v9, v11
	v_sub_f32_e32 v9, v39, v37
	v_add_f32_e32 v10, v24, v5
	v_sub_f32_e32 v24, v2, v5
	v_sub_f32_e32 v2, v5, v2
	v_fma_f32 v26, -0.5, v18, v1
	v_add_f32_e32 v25, v5, v12
	v_dual_sub_f32 v5, v12, v14 :: v_dual_add_f32 v10, v10, v12
	v_sub_f32_e32 v18, v13, v16
	s_delay_alu instid0(VALU_DEP_2) | instskip(SKIP_2) | instid1(VALU_DEP_3)
	v_dual_add_f32 v2, v2, v5 :: v_dual_sub_f32 v23, v7, v11
	v_sub_f32_e32 v7, v39, v7
	v_sub_f32_e32 v11, v37, v11
	v_add_f32_e32 v9, v9, v23
	v_fma_f32 v23, -0.5, v25, v1
	v_sub_f32_e32 v25, v14, v12
	s_delay_alu instid0(VALU_DEP_1) | instskip(SKIP_2) | instid1(VALU_DEP_3)
	v_dual_add_f32 v1, v24, v25 :: v_dual_fmamk_f32 v24, v7, 0xbf737871, v26
	v_dual_fmac_f32 v26, 0x3f737871, v7 :: v_dual_add_f32 v27, v10, v14
	v_sub_f32_e32 v14, v40, v38
	v_fmac_f32_e32 v24, 0x3f167918, v11
	s_delay_alu instid0(VALU_DEP_3) | instskip(NEXT) | instid1(VALU_DEP_2)
	v_fmac_f32_e32 v26, 0xbf167918, v11
	v_dual_fmac_f32 v15, 0x3e9e377a, v19 :: v_dual_fmac_f32 v24, 0x3e9e377a, v2
	s_delay_alu instid0(VALU_DEP_2)
	v_dual_fmac_f32 v26, 0x3e9e377a, v2 :: v_dual_fmac_f32 v17, 0x3e9e377a, v19
	v_fmac_f32_e32 v20, 0x3e9e377a, v9
	v_dual_sub_f32 v2, v38, v40 :: v_dual_fmamk_f32 v19, v11, 0x3f737871, v23
	v_fmac_f32_e32 v22, 0x3e9e377a, v9
	v_fmac_f32_e32 v23, 0xbf737871, v11
	v_add_f32_e32 v9, v36, v38
	v_sub_f32_e32 v11, v16, v13
	v_fmac_f32_e32 v19, 0x3f167918, v7
	s_delay_alu instid0(VALU_DEP_2)
	v_dual_sub_f32 v25, v8, v0 :: v_dual_add_f32 v2, v2, v11
	v_dual_add_f32 v11, v14, v18 :: v_dual_add_f32 v14, v3, v4
	v_add_f32_e32 v5, v9, v40
	v_sub_f32_e32 v9, v4, v0
	v_fmac_f32_e32 v23, 0xbf167918, v7
	v_add_f32_e32 v7, v40, v13
	v_fmac_f32_e32 v19, 0x3e9e377a, v1
	s_delay_alu instid0(VALU_DEP_3) | instskip(SKIP_1) | instid1(VALU_DEP_4)
	v_fmac_f32_e32 v23, 0x3e9e377a, v1
	v_add_f32_e32 v1, v5, v13
	v_fma_f32 v5, -0.5, v7, v36
	v_sub_f32_e32 v13, v40, v13
	v_add_f32_e32 v7, v38, v16
	s_delay_alu instid0(VALU_DEP_4) | instskip(NEXT) | instid1(VALU_DEP_2)
	v_add_f32_e32 v10, v1, v16
	v_dual_sub_f32 v1, v6, v8 :: v_dual_fmac_f32 v36, -0.5, v7
	v_fmamk_f32 v7, v9, 0xbf737871, v5
	s_delay_alu instid0(VALU_DEP_2) | instskip(NEXT) | instid1(VALU_DEP_2)
	v_dual_fmac_f32 v5, 0x3f737871, v9 :: v_dual_fmamk_f32 v12, v1, 0x3f737871, v36
	v_fmac_f32_e32 v7, 0xbf167918, v1
	s_delay_alu instid0(VALU_DEP_2) | instskip(SKIP_1) | instid1(VALU_DEP_3)
	v_fmac_f32_e32 v5, 0x3f167918, v1
	v_dual_fmac_f32 v36, 0xbf737871, v1 :: v_dual_add_f32 v1, v6, v8
	v_fmac_f32_e32 v7, 0x3e9e377a, v2
	s_delay_alu instid0(VALU_DEP_3) | instskip(NEXT) | instid1(VALU_DEP_3)
	v_dual_fmac_f32 v5, 0x3e9e377a, v2 :: v_dual_add_f32 v2, v4, v0
	v_fma_f32 v1, -0.5, v1, v3
	s_delay_alu instid0(VALU_DEP_2)
	v_fmac_f32_e32 v3, -0.5, v2
	v_sub_f32_e32 v2, v4, v6
	v_sub_f32_e32 v4, v6, v4
	v_add_f32_e32 v6, v14, v6
	v_fmac_f32_e32 v12, 0xbf167918, v9
	v_dual_fmac_f32 v36, 0x3f167918, v9 :: v_dual_sub_f32 v9, v38, v16
	v_fmamk_f32 v18, v13, 0xbf737871, v3
	v_fmac_f32_e32 v3, 0x3f737871, v13
	v_add_f32_e32 v4, v4, v25
	v_sub_f32_e32 v16, v0, v8
	v_fmac_f32_e32 v12, 0x3e9e377a, v11
	v_fmac_f32_e32 v36, 0x3e9e377a, v11
	s_delay_alu instid0(VALU_DEP_3) | instskip(NEXT) | instid1(VALU_DEP_1)
	v_dual_fmac_f32 v3, 0xbf167918, v9 :: v_dual_add_f32 v2, v2, v16
	v_fmac_f32_e32 v3, 0x3e9e377a, v4
	s_delay_alu instid0(VALU_DEP_1) | instskip(SKIP_1) | instid1(VALU_DEP_2)
	v_mul_f32_e32 v16, 0xbf737871, v3
	v_fmac_f32_e32 v18, 0x3f167918, v9
	v_fmac_f32_e32 v16, 0xbe9e377a, v36
	s_delay_alu instid0(VALU_DEP_2) | instskip(SKIP_1) | instid1(VALU_DEP_3)
	v_fmac_f32_e32 v18, 0x3e9e377a, v4
	v_add_f32_e32 v4, v6, v8
	v_add_f32_e32 v6, v20, v16
	s_delay_alu instid0(VALU_DEP_3) | instskip(SKIP_2) | instid1(VALU_DEP_2)
	v_mul_f32_e32 v30, 0x3e9e377a, v18
	v_mul_f32_e32 v14, 0xbf737871, v18
	v_dual_sub_f32 v16, v20, v16 :: v_dual_mul_f32 v31, 0xbe9e377a, v3
	v_fmac_f32_e32 v14, 0x3e9e377a, v12
	v_fmamk_f32 v11, v9, 0x3f737871, v1
	v_fmac_f32_e32 v1, 0xbf737871, v9
	v_add_f32_e32 v25, v4, v0
	s_delay_alu instid0(VALU_DEP_4) | instskip(NEXT) | instid1(VALU_DEP_3)
	v_dual_fmac_f32 v31, 0x3f737871, v36 :: v_dual_add_f32 v4, v22, v14
	v_dual_sub_f32 v14, v22, v14 :: v_dual_fmac_f32 v1, 0xbf167918, v13
	v_add_f32_e32 v0, v21, v10
	v_sub_f32_e32 v10, v21, v10
	s_delay_alu instid0(VALU_DEP_3) | instskip(NEXT) | instid1(VALU_DEP_1)
	v_fmac_f32_e32 v1, 0x3e9e377a, v2
	v_mul_f32_e32 v28, 0xbf167918, v1
	s_delay_alu instid0(VALU_DEP_1) | instskip(SKIP_4) | instid1(VALU_DEP_4)
	v_fmac_f32_e32 v28, 0xbf4f1bbd, v5
	v_fmac_f32_e32 v11, 0x3f167918, v13
	;; [unrolled: 1-line block ×3, first 2 shown]
	v_mul_f32_e32 v32, 0xbf4f1bbd, v1
	v_add_f32_e32 v1, v27, v25
	v_dual_add_f32 v8, v15, v28 :: v_dual_fmac_f32 v11, 0x3e9e377a, v2
	v_sub_f32_e32 v18, v15, v28
	s_delay_alu instid0(VALU_DEP_4) | instskip(SKIP_1) | instid1(VALU_DEP_4)
	v_dual_fmac_f32 v32, 0x3f167918, v5 :: v_dual_add_f32 v5, v24, v30
	v_sub_f32_e32 v15, v24, v30
	v_mul_f32_e32 v13, 0xbf167918, v11
	s_delay_alu instid0(VALU_DEP_3) | instskip(NEXT) | instid1(VALU_DEP_2)
	v_add_f32_e32 v9, v23, v32
	v_fmac_f32_e32 v13, 0x3f4f1bbd, v7
	s_delay_alu instid0(VALU_DEP_1) | instskip(SKIP_3) | instid1(VALU_DEP_4)
	v_dual_sub_f32 v12, v17, v13 :: v_dual_mul_f32 v29, 0x3f4f1bbd, v11
	v_add_f32_e32 v2, v17, v13
	v_sub_f32_e32 v11, v27, v25
	v_sub_f32_e32 v17, v26, v31
	v_fmac_f32_e32 v29, 0x3f167918, v7
	v_add_f32_e32 v7, v26, v31
	s_delay_alu instid0(VALU_DEP_2)
	v_add_f32_e32 v3, v19, v29
	v_sub_f32_e32 v13, v19, v29
	v_sub_f32_e32 v19, v23, v32
	ds_store_2addr_b64 v81, v[0:1], v[2:3] offset1:9
	ds_store_2addr_b64 v81, v[4:5], v[6:7] offset0:18 offset1:27
	ds_store_2addr_b64 v81, v[8:9], v[10:11] offset0:36 offset1:45
	;; [unrolled: 1-line block ×4, first 2 shown]
	global_wb scope:SCOPE_SE
	s_wait_dscnt 0x0
	s_barrier_signal -1
	s_barrier_wait -1
	global_inv scope:SCOPE_SE
	ds_load_2addr_b64 v[0:3], v81 offset1:9
	ds_load_2addr_b64 v[8:11], v81 offset0:60 offset1:69
	v_mad_co_u64_u32 v[18:19], null, s6, v56, 0
	s_delay_alu instid0(VALU_DEP_1) | instskip(NEXT) | instid1(VALU_DEP_1)
	v_mov_b32_e32 v12, v19
	v_mad_co_u64_u32 v[19:20], null, s7, v56, v[12:13]
	ds_load_2addr_b64 v[12:15], v81 offset0:39 offset1:48
	v_mad_co_u64_u32 v[20:21], null, s4, v79, 0
	s_wait_dscnt 0x1
	v_dual_mul_f32 v4, v74, v1 :: v_dual_mul_f32 v25, v72, v8
	v_mul_f32_e32 v32, v58, v11
	v_mul_f32_e32 v5, v74, v0
	;; [unrolled: 1-line block ×3, first 2 shown]
	s_delay_alu instid0(VALU_DEP_4)
	v_fmac_f32_e32 v4, v73, v0
	v_mul_f32_e32 v24, v72, v9
	v_fmac_f32_e32 v32, v57, v10
	v_fma_f32 v5, v73, v1, -v5
	v_fmac_f32_e32 v26, v69, v2
	v_cvt_f64_f32_e32 v[0:1], v4
	v_fmac_f32_e32 v24, v71, v8
	v_fma_f32 v25, v71, v9, -v25
	v_cvt_f64_f32_e32 v[16:17], v5
	ds_load_2addr_b64 v[4:7], v81 offset0:18 offset1:30
	v_mul_f32_e32 v33, v58, v10
	v_cvt_f64_f32_e32 v[8:9], v24
	s_wait_dscnt 0x1
	v_dual_mul_f32 v31, v66, v12 :: v_dual_mul_f32 v36, v60, v15
	v_mul_f32_e32 v30, v66, v13
	v_cvt_f64_f32_e32 v[24:25], v25
	s_delay_alu instid0(VALU_DEP_3) | instskip(NEXT) | instid1(VALU_DEP_4)
	v_fma_f32 v31, v65, v13, -v31
	v_fmac_f32_e32 v36, v59, v14
	v_mul_f32_e32 v14, v60, v14
	v_fmac_f32_e32 v30, v65, v12
	s_delay_alu instid0(VALU_DEP_2) | instskip(NEXT) | instid1(VALU_DEP_2)
	v_fma_f32 v40, v59, v15, -v14
	v_cvt_f64_f32_e32 v[12:13], v30
	v_cvt_f64_f32_e32 v[30:31], v31
	s_wait_dscnt 0x0
	v_mul_f32_e32 v22, v68, v7
	v_dual_mul_f32 v34, v64, v5 :: v_dual_mul_f32 v27, v70, v2
	s_delay_alu instid0(VALU_DEP_2) | instskip(NEXT) | instid1(VALU_DEP_2)
	v_fmac_f32_e32 v22, v67, v6
	v_fmac_f32_e32 v34, v63, v4
	s_delay_alu instid0(VALU_DEP_3)
	v_fma_f32 v28, v69, v3, -v27
	v_mul_f32_e32 v4, v64, v4
	v_fma_f32 v33, v57, v11, -v33
	v_cvt_f64_f32_e32 v[22:23], v22
	v_cvt_f64_f32_e32 v[10:11], v32
	;; [unrolled: 1-line block ×4, first 2 shown]
	s_wait_alu 0xfffe
	v_mul_f64_e32 v[0:1], s[2:3], v[0:1]
	v_cvt_f64_f32_e32 v[32:33], v33
	v_mul_f32_e32 v6, v68, v6
	v_mul_f64_e32 v[16:17], s[2:3], v[16:17]
	v_cvt_f64_f32_e32 v[2:3], v26
	ds_load_b64 v[26:27], v81 offset:624
	v_fma_f32 v4, v63, v5, -v4
	v_fma_f32 v6, v67, v7, -v6
	v_mul_f64_e32 v[8:9], s[2:3], v[8:9]
	v_mul_f64_e32 v[24:25], s[2:3], v[24:25]
	s_delay_alu instid0(VALU_DEP_4) | instskip(NEXT) | instid1(VALU_DEP_4)
	v_cvt_f64_f32_e32 v[4:5], v4
	v_cvt_f64_f32_e32 v[6:7], v6
	s_wait_dscnt 0x0
	v_mul_f32_e32 v38, v62, v27
	s_delay_alu instid0(VALU_DEP_1)
	v_fmac_f32_e32 v38, v61, v26
	v_mul_f64_e32 v[14:15], s[2:3], v[22:23]
	v_cvt_f64_f32_e32 v[22:23], v40
	v_mul_f64_e32 v[10:11], s[2:3], v[10:11]
	v_cvt_f32_f64_e32 v42, v[16:17]
	v_mul_f64_e32 v[16:17], s[2:3], v[28:29]
	v_mul_f64_e32 v[28:29], s[2:3], v[34:35]
	;; [unrolled: 1-line block ×3, first 2 shown]
	v_cvt_f32_f64_e32 v8, v[8:9]
	v_cvt_f32_f64_e32 v9, v[24:25]
	v_mul_f64_e32 v[4:5], s[2:3], v[4:5]
	v_mul_f64_e32 v[6:7], s[2:3], v[6:7]
	v_cvt_f32_f64_e32 v14, v[14:15]
	v_mad_co_u64_u32 v[40:41], null, s5, v79, v[21:22]
	v_cvt_f32_f64_e32 v41, v[0:1]
	v_lshlrev_b64_e32 v[0:1], 3, v[18:19]
	v_cvt_f32_f64_e32 v10, v[10:11]
	v_mul_f64_e32 v[22:23], s[2:3], v[22:23]
	v_mov_b32_e32 v21, v40
	s_delay_alu instid0(VALU_DEP_4) | instskip(SKIP_2) | instid1(VALU_DEP_3)
	v_add_co_u32 v40, s0, s8, v0
	s_wait_alu 0xf1ff
	v_add_co_ci_u32_e64 v43, s0, s9, v1, s0
	v_lshlrev_b64_e32 v[18:19], 3, v[20:21]
	v_mul_f64_e32 v[20:21], s[2:3], v[32:33]
	v_mul_f64_e32 v[0:1], s[2:3], v[12:13]
	v_cvt_f64_f32_e32 v[36:37], v36
	v_mul_f64_e32 v[12:13], s[2:3], v[30:31]
	v_cvt_f32_f64_e32 v15, v[6:7]
	v_add_co_u32 v18, s0, v40, v18
	s_wait_alu 0xf1ff
	v_add_co_ci_u32_e64 v19, s0, v43, v19, s0
	s_mul_u64 s[0:1], s[4:5], 30
	v_cvt_f32_f64_e32 v2, v[2:3]
	s_wait_alu 0xfffe
	s_lshl_b64 s[6:7], s[0:1], 3
	v_cvt_f32_f64_e32 v3, v[16:17]
	s_wait_alu 0xfffe
	v_add_co_u32 v6, s0, v18, s6
	s_wait_alu 0xf1ff
	v_add_co_ci_u32_e64 v7, s0, s7, v19, s0
	s_delay_alu instid0(VALU_DEP_2) | instskip(SKIP_1) | instid1(VALU_DEP_2)
	v_add_co_u32 v24, s0, v6, s6
	s_wait_alu 0xf1ff
	v_add_co_ci_u32_e64 v25, s0, s7, v7, s0
	s_movk_i32 s0, 0xffcd
	s_mov_b32 s1, -1
	s_clause 0x2
	global_store_b64 v[18:19], v[41:42], off
	global_store_b64 v[6:7], v[14:15], off
	;; [unrolled: 1-line block ×3, first 2 shown]
	v_cvt_f32_f64_e32 v11, v[20:21]
	v_cvt_f32_f64_e32 v20, v[28:29]
	v_mad_co_u64_u32 v[28:29], null, s4, v80, 0
	v_mul_f32_e32 v39, v62, v26
	v_cvt_f32_f64_e32 v34, v[0:1]
	v_mul_f64_e32 v[30:31], s[2:3], v[36:37]
	s_wait_alu 0xfffe
	s_mul_u64 s[0:1], s[4:5], s[0:1]
	v_cvt_f32_f64_e32 v35, v[12:13]
	s_wait_alu 0xfffe
	s_lshl_b64 s[8:9], s[0:1], 3
	v_mov_b32_e32 v0, v29
	v_fma_f32 v39, v61, v27, -v39
	v_cvt_f64_f32_e32 v[26:27], v38
	s_wait_alu 0xfffe
	v_add_co_u32 v16, s0, v24, s8
	s_wait_alu 0xf1ff
	v_add_co_ci_u32_e64 v17, s0, s9, v25, s0
	v_cvt_f64_f32_e32 v[38:39], v39
	s_delay_alu instid0(VALU_DEP_3)
	v_add_co_u32 v12, s0, v16, s6
	v_cvt_f32_f64_e32 v21, v[4:5]
	s_wait_alu 0xf1ff
	v_add_co_ci_u32_e64 v13, s0, s7, v17, s0
	v_cvt_f32_f64_e32 v5, v[22:23]
	s_clause 0x1
	global_store_b64 v[16:17], v[2:3], off
	global_store_b64 v[12:13], v[34:35], off
	v_cvt_f32_f64_e32 v4, v[30:31]
	v_mul_f64_e32 v[26:27], s[2:3], v[26:27]
	v_mul_f64_e32 v[32:33], s[2:3], v[38:39]
	s_delay_alu instid0(VALU_DEP_2) | instskip(SKIP_3) | instid1(VALU_DEP_4)
	v_cvt_f32_f64_e32 v22, v[26:27]
	v_add_co_u32 v26, s0, v12, s6
	s_wait_alu 0xf1ff
	v_add_co_ci_u32_e64 v27, s0, s7, v13, s0
	v_cvt_f32_f64_e32 v23, v[32:33]
	s_delay_alu instid0(VALU_DEP_3) | instskip(SKIP_1) | instid1(VALU_DEP_3)
	v_add_co_u32 v30, s0, v26, s8
	s_wait_alu 0xf1ff
	v_add_co_ci_u32_e64 v31, s0, s9, v27, s0
	v_mad_co_u64_u32 v[32:33], null, s5, v80, v[0:1]
	s_delay_alu instid0(VALU_DEP_2) | instskip(NEXT) | instid1(VALU_DEP_2)
	v_mad_co_u64_u32 v[0:1], null, 0x1e0, s4, v[30:31]
	v_mov_b32_e32 v29, v32
	s_delay_alu instid0(VALU_DEP_2) | instskip(NEXT) | instid1(VALU_DEP_2)
	v_mad_co_u64_u32 v[8:9], null, 0x1e0, s5, v[1:2]
	v_lshlrev_b64_e32 v[6:7], 3, v[28:29]
	s_delay_alu instid0(VALU_DEP_1) | instskip(NEXT) | instid1(VALU_DEP_3)
	v_add_co_u32 v2, s0, v40, v6
	v_mov_b32_e32 v1, v8
	s_wait_alu 0xf1ff
	s_delay_alu instid0(VALU_DEP_3)
	v_add_co_ci_u32_e64 v3, s0, v43, v7, s0
	global_store_b64 v[26:27], v[10:11], off
	global_store_b64 v[30:31], v[20:21], off
	;; [unrolled: 1-line block ×4, first 2 shown]
	s_and_b32 exec_lo, exec_lo, vcc_lo
	s_cbranch_execz .LBB0_23
; %bb.22:
	s_clause 0x2
	global_load_b64 v[6:7], v[54:55], off offset:216
	global_load_b64 v[8:9], v[54:55], off offset:456
	global_load_b64 v[10:11], v[54:55], off offset:696
	ds_load_2addr_b64 v[2:5], v81 offset0:27 offset1:57
	ds_load_b64 v[12:13], v81 offset:696
	v_add_co_u32 v0, vcc_lo, v0, s8
	s_wait_alu 0xfffd
	v_add_co_ci_u32_e32 v1, vcc_lo, s9, v1, vcc_lo
	s_wait_loadcnt_dscnt 0x101
	v_dual_mul_f32 v14, v3, v7 :: v_dual_mul_f32 v15, v5, v9
	s_wait_loadcnt_dscnt 0x0
	v_dual_mul_f32 v9, v4, v9 :: v_dual_mul_f32 v16, v13, v11
	v_mul_f32_e32 v7, v2, v7
	s_delay_alu instid0(VALU_DEP_3) | instskip(SKIP_1) | instid1(VALU_DEP_4)
	v_dual_mul_f32 v11, v12, v11 :: v_dual_fmac_f32 v14, v2, v6
	v_fmac_f32_e32 v15, v4, v8
	v_fmac_f32_e32 v16, v12, v10
	s_delay_alu instid0(VALU_DEP_4)
	v_fma_f32 v6, v6, v3, -v7
	v_fma_f32 v8, v8, v5, -v9
	;; [unrolled: 1-line block ×3, first 2 shown]
	v_cvt_f64_f32_e32 v[2:3], v14
	v_cvt_f64_f32_e32 v[10:11], v16
	;; [unrolled: 1-line block ×6, first 2 shown]
	v_mul_f64_e32 v[2:3], s[2:3], v[2:3]
	v_mul_f64_e32 v[10:11], s[2:3], v[10:11]
	;; [unrolled: 1-line block ×6, first 2 shown]
	v_cvt_f32_f64_e32 v2, v[2:3]
	v_cvt_f32_f64_e32 v3, v[4:5]
	;; [unrolled: 1-line block ×6, first 2 shown]
	v_add_co_u32 v8, vcc_lo, v0, s6
	s_wait_alu 0xfffd
	v_add_co_ci_u32_e32 v9, vcc_lo, s7, v1, vcc_lo
	s_delay_alu instid0(VALU_DEP_2) | instskip(SKIP_1) | instid1(VALU_DEP_2)
	v_add_co_u32 v10, vcc_lo, v8, s6
	s_wait_alu 0xfffd
	v_add_co_ci_u32_e32 v11, vcc_lo, s7, v9, vcc_lo
	global_store_b64 v[0:1], v[2:3], off
	global_store_b64 v[8:9], v[4:5], off
	;; [unrolled: 1-line block ×3, first 2 shown]
.LBB0_23:
	s_nop 0
	s_sendmsg sendmsg(MSG_DEALLOC_VGPRS)
	s_endpgm
	.section	.rodata,"a",@progbits
	.p2align	6, 0x0
	.amdhsa_kernel bluestein_single_back_len90_dim1_sp_op_CI_CI
		.amdhsa_group_segment_fixed_size 5040
		.amdhsa_private_segment_fixed_size 0
		.amdhsa_kernarg_size 104
		.amdhsa_user_sgpr_count 2
		.amdhsa_user_sgpr_dispatch_ptr 0
		.amdhsa_user_sgpr_queue_ptr 0
		.amdhsa_user_sgpr_kernarg_segment_ptr 1
		.amdhsa_user_sgpr_dispatch_id 0
		.amdhsa_user_sgpr_private_segment_size 0
		.amdhsa_wavefront_size32 1
		.amdhsa_uses_dynamic_stack 0
		.amdhsa_enable_private_segment 0
		.amdhsa_system_sgpr_workgroup_id_x 1
		.amdhsa_system_sgpr_workgroup_id_y 0
		.amdhsa_system_sgpr_workgroup_id_z 0
		.amdhsa_system_sgpr_workgroup_info 0
		.amdhsa_system_vgpr_workitem_id 0
		.amdhsa_next_free_vgpr 125
		.amdhsa_next_free_sgpr 16
		.amdhsa_reserve_vcc 1
		.amdhsa_float_round_mode_32 0
		.amdhsa_float_round_mode_16_64 0
		.amdhsa_float_denorm_mode_32 3
		.amdhsa_float_denorm_mode_16_64 3
		.amdhsa_fp16_overflow 0
		.amdhsa_workgroup_processor_mode 1
		.amdhsa_memory_ordered 1
		.amdhsa_forward_progress 0
		.amdhsa_round_robin_scheduling 0
		.amdhsa_exception_fp_ieee_invalid_op 0
		.amdhsa_exception_fp_denorm_src 0
		.amdhsa_exception_fp_ieee_div_zero 0
		.amdhsa_exception_fp_ieee_overflow 0
		.amdhsa_exception_fp_ieee_underflow 0
		.amdhsa_exception_fp_ieee_inexact 0
		.amdhsa_exception_int_div_zero 0
	.end_amdhsa_kernel
	.text
.Lfunc_end0:
	.size	bluestein_single_back_len90_dim1_sp_op_CI_CI, .Lfunc_end0-bluestein_single_back_len90_dim1_sp_op_CI_CI
                                        ; -- End function
	.section	.AMDGPU.csdata,"",@progbits
; Kernel info:
; codeLenInByte = 8956
; NumSgprs: 18
; NumVgprs: 125
; ScratchSize: 0
; MemoryBound: 0
; FloatMode: 240
; IeeeMode: 1
; LDSByteSize: 5040 bytes/workgroup (compile time only)
; SGPRBlocks: 2
; VGPRBlocks: 15
; NumSGPRsForWavesPerEU: 18
; NumVGPRsForWavesPerEU: 125
; Occupancy: 10
; WaveLimiterHint : 1
; COMPUTE_PGM_RSRC2:SCRATCH_EN: 0
; COMPUTE_PGM_RSRC2:USER_SGPR: 2
; COMPUTE_PGM_RSRC2:TRAP_HANDLER: 0
; COMPUTE_PGM_RSRC2:TGID_X_EN: 1
; COMPUTE_PGM_RSRC2:TGID_Y_EN: 0
; COMPUTE_PGM_RSRC2:TGID_Z_EN: 0
; COMPUTE_PGM_RSRC2:TIDIG_COMP_CNT: 0
	.text
	.p2alignl 7, 3214868480
	.fill 96, 4, 3214868480
	.type	__hip_cuid_5fd11c1e7b8dada5,@object ; @__hip_cuid_5fd11c1e7b8dada5
	.section	.bss,"aw",@nobits
	.globl	__hip_cuid_5fd11c1e7b8dada5
__hip_cuid_5fd11c1e7b8dada5:
	.byte	0                               ; 0x0
	.size	__hip_cuid_5fd11c1e7b8dada5, 1

	.ident	"AMD clang version 19.0.0git (https://github.com/RadeonOpenCompute/llvm-project roc-6.4.0 25133 c7fe45cf4b819c5991fe208aaa96edf142730f1d)"
	.section	".note.GNU-stack","",@progbits
	.addrsig
	.addrsig_sym __hip_cuid_5fd11c1e7b8dada5
	.amdgpu_metadata
---
amdhsa.kernels:
  - .args:
      - .actual_access:  read_only
        .address_space:  global
        .offset:         0
        .size:           8
        .value_kind:     global_buffer
      - .actual_access:  read_only
        .address_space:  global
        .offset:         8
        .size:           8
        .value_kind:     global_buffer
      - .actual_access:  read_only
        .address_space:  global
        .offset:         16
        .size:           8
        .value_kind:     global_buffer
      - .actual_access:  read_only
        .address_space:  global
        .offset:         24
        .size:           8
        .value_kind:     global_buffer
      - .actual_access:  read_only
        .address_space:  global
        .offset:         32
        .size:           8
        .value_kind:     global_buffer
      - .offset:         40
        .size:           8
        .value_kind:     by_value
      - .address_space:  global
        .offset:         48
        .size:           8
        .value_kind:     global_buffer
      - .address_space:  global
        .offset:         56
        .size:           8
        .value_kind:     global_buffer
      - .address_space:  global
        .offset:         64
        .size:           8
        .value_kind:     global_buffer
      - .address_space:  global
        .offset:         72
        .size:           8
        .value_kind:     global_buffer
      - .offset:         80
        .size:           4
        .value_kind:     by_value
      - .address_space:  global
        .offset:         88
        .size:           8
        .value_kind:     global_buffer
      - .address_space:  global
        .offset:         96
        .size:           8
        .value_kind:     global_buffer
    .group_segment_fixed_size: 5040
    .kernarg_segment_align: 8
    .kernarg_segment_size: 104
    .language:       OpenCL C
    .language_version:
      - 2
      - 0
    .max_flat_workgroup_size: 63
    .name:           bluestein_single_back_len90_dim1_sp_op_CI_CI
    .private_segment_fixed_size: 0
    .sgpr_count:     18
    .sgpr_spill_count: 0
    .symbol:         bluestein_single_back_len90_dim1_sp_op_CI_CI.kd
    .uniform_work_group_size: 1
    .uses_dynamic_stack: false
    .vgpr_count:     125
    .vgpr_spill_count: 0
    .wavefront_size: 32
    .workgroup_processor_mode: 1
amdhsa.target:   amdgcn-amd-amdhsa--gfx1201
amdhsa.version:
  - 1
  - 2
...

	.end_amdgpu_metadata
